;; amdgpu-corpus repo=ROCm/rocFFT kind=compiled arch=gfx906 opt=O3
	.text
	.amdgcn_target "amdgcn-amd-amdhsa--gfx906"
	.amdhsa_code_object_version 6
	.protected	fft_rtc_fwd_len104_factors_13_8_wgs_208_tpt_13_dp_op_CI_CI_sbcc_twdbase8_2step_dirReg_intrinsicRead ; -- Begin function fft_rtc_fwd_len104_factors_13_8_wgs_208_tpt_13_dp_op_CI_CI_sbcc_twdbase8_2step_dirReg_intrinsicRead
	.globl	fft_rtc_fwd_len104_factors_13_8_wgs_208_tpt_13_dp_op_CI_CI_sbcc_twdbase8_2step_dirReg_intrinsicRead
	.p2align	8
	.type	fft_rtc_fwd_len104_factors_13_8_wgs_208_tpt_13_dp_op_CI_CI_sbcc_twdbase8_2step_dirReg_intrinsicRead,@function
fft_rtc_fwd_len104_factors_13_8_wgs_208_tpt_13_dp_op_CI_CI_sbcc_twdbase8_2step_dirReg_intrinsicRead: ; @fft_rtc_fwd_len104_factors_13_8_wgs_208_tpt_13_dp_op_CI_CI_sbcc_twdbase8_2step_dirReg_intrinsicRead
; %bb.0:
	s_load_dwordx4 s[0:3], s[4:5], 0x18
	s_load_dwordx2 s[26:27], s[4:5], 0x28
	s_mov_b32 s7, 0
	s_mov_b64 s[28:29], 0
	s_waitcnt lgkmcnt(0)
	s_load_dwordx2 s[24:25], s[0:1], 0x8
	s_waitcnt lgkmcnt(0)
	s_add_u32 s8, s24, -1
	s_addc_u32 s9, s25, -1
	s_lshr_b64 s[8:9], s[8:9], 4
	s_add_u32 s34, s8, 1
	s_addc_u32 s35, s9, 0
	v_mov_b32_e32 v1, s34
	v_mov_b32_e32 v2, s35
	v_cmp_lt_u64_e32 vcc, s[6:7], v[1:2]
	s_cbranch_vccnz .LBB0_2
; %bb.1:
	v_cvt_f32_u32_e32 v1, s34
	s_sub_i32 s8, 0, s34
	s_mov_b32 s29, s7
	v_rcp_iflag_f32_e32 v1, v1
	v_mul_f32_e32 v1, 0x4f7ffffe, v1
	v_cvt_u32_f32_e32 v1, v1
	v_readfirstlane_b32 s9, v1
	s_mul_i32 s8, s8, s9
	s_mul_hi_u32 s8, s9, s8
	s_add_i32 s9, s9, s8
	s_mul_hi_u32 s8, s6, s9
	s_mul_i32 s10, s8, s34
	s_sub_i32 s10, s6, s10
	s_add_i32 s9, s8, 1
	s_sub_i32 s11, s10, s34
	s_cmp_ge_u32 s10, s34
	s_cselect_b32 s8, s9, s8
	s_cselect_b32 s10, s11, s10
	s_add_i32 s9, s8, 1
	s_cmp_ge_u32 s10, s34
	s_cselect_b32 s28, s9, s8
.LBB0_2:
	s_mul_i32 s16, s28, s35
	s_mul_hi_u32 s17, s28, s34
	s_load_dwordx4 s[12:15], s[4:5], 0x60
	s_load_dwordx4 s[20:23], s[2:3], 0x0
	;; [unrolled: 1-line block ×3, first 2 shown]
	s_add_i32 s17, s17, s16
	s_mul_i32 s16, s28, s34
	s_sub_u32 s36, s6, s16
	s_subb_u32 s37, 0, s17
	v_mov_b32_e32 v1, s36
	v_alignbit_b32 v1, s37, v1, 28
	s_waitcnt lgkmcnt(0)
	v_mul_lo_u32 v2, s22, v1
	s_load_dwordx2 s[30:31], s[4:5], 0x0
	s_load_dwordx4 s[16:19], s[4:5], 0x8
	s_lshl_b64 s[4:5], s[36:37], 4
	s_mul_hi_u32 s21, s22, s4
	v_mul_lo_u32 v1, s10, v1
	v_add_u32_e32 v2, s21, v2
	s_mul_i32 s21, s23, s4
	v_add_u32_e32 v4, s21, v2
	s_mul_i32 s21, s22, s4
	v_mov_b32_e32 v3, s21
	s_mul_hi_u32 s21, s10, s4
	v_add_u32_e32 v1, s21, v1
	s_mul_i32 s21, s11, s4
	s_waitcnt lgkmcnt(0)
	v_cmp_lt_u64_e64 s[36:37], s[18:19], 3
	v_add_u32_e32 v54, s21, v1
	s_mul_i32 s21, s10, s4
	v_mov_b32_e32 v53, s21
	s_and_b64 vcc, exec, s[36:37]
	s_cbranch_vccnz .LBB0_11
; %bb.3:
	s_add_u32 s36, s26, 16
	s_addc_u32 s37, s27, 0
	s_add_u32 s38, s2, 16
	s_addc_u32 s39, s3, 0
	s_add_u32 s40, s0, 16
	v_mov_b32_e32 v1, s18
	s_addc_u32 s41, s1, 0
	s_mov_b64 s[42:43], 2
	s_mov_b32 s44, 0
	v_mov_b32_e32 v2, s19
	s_branch .LBB0_5
.LBB0_4:                                ;   in Loop: Header=BB0_5 Depth=1
	s_mul_i32 s21, s46, s35
	s_mul_hi_u32 s23, s46, s34
	s_add_i32 s21, s23, s21
	s_mul_i32 s23, s47, s34
	s_add_i32 s35, s21, s23
	s_mul_i32 s21, s0, s47
	s_mul_hi_u32 s23, s0, s46
	s_load_dwordx2 s[48:49], s[38:39], 0x0
	s_add_i32 s21, s23, s21
	s_mul_i32 s23, s1, s46
	s_add_i32 s21, s21, s23
	s_mul_i32 s23, s0, s46
	s_sub_u32 s23, s28, s23
	s_subb_u32 s21, s29, s21
	s_waitcnt lgkmcnt(0)
	s_mul_i32 s28, s48, s21
	s_mul_hi_u32 s29, s48, s23
	s_add_i32 s28, s29, s28
	s_mul_i32 s29, s49, s23
	s_add_i32 s28, s28, s29
	v_mov_b32_e32 v5, s28
	s_load_dwordx2 s[28:29], s[36:37], 0x0
	s_mul_i32 s33, s48, s23
	v_add_co_u32_e32 v3, vcc, s33, v3
	v_addc_co_u32_e32 v4, vcc, v5, v4, vcc
	s_waitcnt lgkmcnt(0)
	s_mul_i32 s21, s28, s21
	s_mul_hi_u32 s33, s28, s23
	s_add_i32 s21, s33, s21
	s_mul_i32 s29, s29, s23
	s_add_i32 s21, s21, s29
	s_add_u32 s42, s42, 1
	s_addc_u32 s43, s43, 0
	s_mul_i32 s23, s28, s23
	s_add_u32 s36, s36, 8
	v_mov_b32_e32 v5, s21
	v_add_co_u32_e32 v53, vcc, s23, v53
	s_addc_u32 s37, s37, 0
	v_addc_co_u32_e32 v54, vcc, v5, v54, vcc
	s_add_u32 s38, s38, 8
	s_addc_u32 s39, s39, 0
	v_cmp_ge_u64_e32 vcc, s[42:43], v[1:2]
	s_add_u32 s40, s40, 8
	s_mul_i32 s34, s46, s34
	s_addc_u32 s41, s41, 0
	s_mov_b64 s[28:29], s[0:1]
	s_cbranch_vccnz .LBB0_9
.LBB0_5:                                ; =>This Inner Loop Header: Depth=1
	s_load_dwordx2 s[46:47], s[40:41], 0x0
	s_waitcnt lgkmcnt(0)
	s_or_b64 s[0:1], s[28:29], s[46:47]
	s_mov_b32 s45, s1
	s_cmp_lg_u64 s[44:45], 0
	s_cbranch_scc0 .LBB0_7
; %bb.6:                                ;   in Loop: Header=BB0_5 Depth=1
	v_cvt_f32_u32_e32 v5, s46
	v_cvt_f32_u32_e32 v6, s47
	s_sub_u32 s0, 0, s46
	s_subb_u32 s1, 0, s47
	v_mac_f32_e32 v5, 0x4f800000, v6
	v_rcp_f32_e32 v5, v5
	v_mul_f32_e32 v5, 0x5f7ffffc, v5
	v_mul_f32_e32 v6, 0x2f800000, v5
	v_trunc_f32_e32 v6, v6
	v_mac_f32_e32 v5, 0xcf800000, v6
	v_cvt_u32_f32_e32 v6, v6
	v_cvt_u32_f32_e32 v5, v5
	v_readfirstlane_b32 s21, v6
	v_readfirstlane_b32 s23, v5
	s_mul_i32 s33, s0, s21
	s_mul_hi_u32 s48, s0, s23
	s_mul_i32 s45, s1, s23
	s_add_i32 s33, s48, s33
	s_mul_i32 s49, s0, s23
	s_add_i32 s33, s33, s45
	s_mul_hi_u32 s45, s23, s33
	s_mul_i32 s48, s23, s33
	s_mul_hi_u32 s23, s23, s49
	s_add_u32 s23, s23, s48
	s_addc_u32 s45, 0, s45
	s_mul_hi_u32 s50, s21, s49
	s_mul_i32 s49, s21, s49
	s_add_u32 s23, s23, s49
	s_mul_hi_u32 s48, s21, s33
	s_addc_u32 s23, s45, s50
	s_addc_u32 s45, s48, 0
	s_mul_i32 s33, s21, s33
	s_add_u32 s23, s23, s33
	s_addc_u32 s33, 0, s45
	v_add_co_u32_e32 v5, vcc, s23, v5
	s_cmp_lg_u64 vcc, 0
	s_addc_u32 s21, s21, s33
	v_readfirstlane_b32 s33, v5
	s_mul_i32 s23, s0, s21
	s_mul_hi_u32 s45, s0, s33
	s_add_i32 s23, s45, s23
	s_mul_i32 s1, s1, s33
	s_add_i32 s23, s23, s1
	s_mul_i32 s0, s0, s33
	s_mul_hi_u32 s45, s21, s0
	s_mul_i32 s48, s21, s0
	s_mul_i32 s50, s33, s23
	s_mul_hi_u32 s0, s33, s0
	s_mul_hi_u32 s49, s33, s23
	s_add_u32 s0, s0, s50
	s_addc_u32 s33, 0, s49
	s_add_u32 s0, s0, s48
	s_mul_hi_u32 s1, s21, s23
	s_addc_u32 s0, s33, s45
	s_addc_u32 s1, s1, 0
	s_mul_i32 s23, s21, s23
	s_add_u32 s0, s0, s23
	s_addc_u32 s1, 0, s1
	v_add_co_u32_e32 v5, vcc, s0, v5
	s_cmp_lg_u64 vcc, 0
	s_addc_u32 s0, s21, s1
	v_readfirstlane_b32 s23, v5
	s_mul_i32 s21, s28, s0
	s_mul_hi_u32 s33, s28, s23
	s_mul_hi_u32 s1, s28, s0
	s_add_u32 s21, s33, s21
	s_addc_u32 s1, 0, s1
	s_mul_hi_u32 s45, s29, s23
	s_mul_i32 s23, s29, s23
	s_add_u32 s21, s21, s23
	s_mul_hi_u32 s33, s29, s0
	s_addc_u32 s1, s1, s45
	s_addc_u32 s21, s33, 0
	s_mul_i32 s0, s29, s0
	s_add_u32 s23, s1, s0
	s_addc_u32 s21, 0, s21
	s_mul_i32 s0, s46, s21
	s_mul_hi_u32 s1, s46, s23
	s_add_i32 s0, s1, s0
	s_mul_i32 s1, s47, s23
	s_add_i32 s33, s0, s1
	s_mul_i32 s1, s46, s23
	v_mov_b32_e32 v5, s1
	s_sub_i32 s0, s29, s33
	v_sub_co_u32_e32 v5, vcc, s28, v5
	s_cmp_lg_u64 vcc, 0
	s_subb_u32 s45, s0, s47
	v_subrev_co_u32_e64 v6, s[0:1], s46, v5
	s_cmp_lg_u64 s[0:1], 0
	s_subb_u32 s0, s45, 0
	s_cmp_ge_u32 s0, s47
	v_readfirstlane_b32 s45, v6
	s_cselect_b32 s1, -1, 0
	s_cmp_ge_u32 s45, s46
	s_cselect_b32 s45, -1, 0
	s_cmp_eq_u32 s0, s47
	s_cselect_b32 s0, s45, s1
	s_add_u32 s1, s23, 1
	s_addc_u32 s45, s21, 0
	s_add_u32 s48, s23, 2
	s_addc_u32 s49, s21, 0
	s_cmp_lg_u32 s0, 0
	s_cselect_b32 s0, s48, s1
	s_cselect_b32 s1, s49, s45
	s_cmp_lg_u64 vcc, 0
	s_subb_u32 s33, s29, s33
	s_cmp_ge_u32 s33, s47
	v_readfirstlane_b32 s48, v5
	s_cselect_b32 s45, -1, 0
	s_cmp_ge_u32 s48, s46
	s_cselect_b32 s48, -1, 0
	s_cmp_eq_u32 s33, s47
	s_cselect_b32 s33, s48, s45
	s_cmp_lg_u32 s33, 0
	s_cselect_b32 s1, s1, s21
	s_cselect_b32 s0, s0, s23
	s_cbranch_execnz .LBB0_4
	s_branch .LBB0_8
.LBB0_7:                                ;   in Loop: Header=BB0_5 Depth=1
                                        ; implicit-def: $sgpr0_sgpr1
.LBB0_8:                                ;   in Loop: Header=BB0_5 Depth=1
	v_cvt_f32_u32_e32 v5, s46
	s_sub_i32 s0, 0, s46
	v_rcp_iflag_f32_e32 v5, v5
	v_mul_f32_e32 v5, 0x4f7ffffe, v5
	v_cvt_u32_f32_e32 v5, v5
	v_readfirstlane_b32 s1, v5
	s_mul_i32 s0, s0, s1
	s_mul_hi_u32 s0, s1, s0
	s_add_i32 s1, s1, s0
	s_mul_hi_u32 s0, s28, s1
	s_mul_i32 s21, s0, s46
	s_sub_i32 s21, s28, s21
	s_add_i32 s1, s0, 1
	s_sub_i32 s23, s21, s46
	s_cmp_ge_u32 s21, s46
	s_cselect_b32 s0, s1, s0
	s_cselect_b32 s21, s23, s21
	s_add_i32 s1, s0, 1
	s_cmp_ge_u32 s21, s46
	s_cselect_b32 s0, s1, s0
	s_mov_b32 s1, s44
	s_branch .LBB0_4
.LBB0_9:
	v_mov_b32_e32 v1, s34
	v_mov_b32_e32 v2, s35
	v_cmp_lt_u64_e32 vcc, s[6:7], v[1:2]
	s_mov_b64 s[28:29], 0
	s_cbranch_vccnz .LBB0_11
; %bb.10:
	v_cvt_f32_u32_e32 v1, s34
	s_sub_i32 s0, 0, s34
	v_rcp_iflag_f32_e32 v1, v1
	v_mul_f32_e32 v1, 0x4f7ffffe, v1
	v_cvt_u32_f32_e32 v1, v1
	v_readfirstlane_b32 s1, v1
	s_mul_i32 s0, s0, s1
	s_mul_hi_u32 s0, s1, s0
	s_add_i32 s1, s1, s0
	s_mul_hi_u32 s0, s6, s1
	s_mul_i32 s7, s0, s34
	s_sub_i32 s6, s6, s7
	s_add_i32 s1, s0, 1
	s_sub_i32 s7, s6, s34
	s_cmp_ge_u32 s6, s34
	s_cselect_b32 s0, s1, s0
	s_cselect_b32 s6, s7, s6
	s_add_i32 s1, s0, 1
	s_cmp_ge_u32 s6, s34
	s_cselect_b32 s28, s1, s0
.LBB0_11:
	s_lshl_b64 s[0:1], s[18:19], 3
	s_add_u32 s2, s2, s0
	s_addc_u32 s3, s3, s1
	s_load_dword s2, s[2:3], 0x0
	s_add_u32 s6, s26, s0
	s_addc_u32 s7, s27, s1
	s_add_u32 s0, s4, 16
	v_mov_b32_e32 v1, s24
	s_addc_u32 s1, s5, 0
	v_mov_b32_e32 v2, s25
	v_and_b32_e32 v86, 15, v0
	v_cmp_le_u64_e32 vcc, s[0:1], v[1:2]
	s_movk_i32 s0, 0x7f
	v_or_b32_e32 v55, s4, v86
	s_waitcnt lgkmcnt(0)
	s_mul_i32 s2, s2, s28
	v_mov_b32_e32 v56, s5
	v_cmp_lt_u32_e64 s[4:5], s0, v0
	s_movk_i32 s0, 0x80
	v_add_u32_e32 v3, s2, v3
	v_lshrrev_b32_e32 v87, 4, v0
	v_cmp_gt_u32_e64 s[2:3], s0, v0
	v_cmp_gt_u64_e64 s[0:1], s[24:25], v[55:56]
	v_mul_lo_u32 v1, s22, v86
	v_mul_lo_u32 v2, s20, v87
	v_cndmask_b32_e64 v4, 0, 1, s[2:3]
	v_cndmask_b32_e64 v5, 0, 1, s[0:1]
	s_or_b64 s[4:5], s[4:5], vcc
	v_cndmask_b32_e64 v4, v5, v4, s[4:5]
	v_and_b32_e32 v4, 1, v4
	v_add_lshl_u32 v2, v1, v2, 4
	v_cmp_eq_u32_e64 s[4:5], 1, v4
	v_cndmask_b32_e64 v56, -1, v2, s[4:5]
	v_add_u32_e32 v2, 8, v87
	v_mul_lo_u32 v2, s20, v2
	v_or_b32_e32 v4, 16, v87
	v_mul_lo_u32 v4, s20, v4
	v_lshlrev_b32_e32 v3, 4, v3
	s_mov_b32 s24, s12
	v_readfirstlane_b32 s12, v3
	v_add_lshl_u32 v2, v1, v2, 4
	v_add_u32_e32 v3, 24, v87
	v_cndmask_b32_e64 v57, -1, v2, s[4:5]
	v_add_lshl_u32 v2, v1, v4, 4
	v_mul_lo_u32 v3, s20, v3
	v_or_b32_e32 v4, 32, v87
	v_mul_lo_u32 v4, s20, v4
	v_cndmask_b32_e64 v58, -1, v2, s[4:5]
	v_add_lshl_u32 v2, v1, v3, 4
	v_add_u32_e32 v3, 40, v87
	v_cndmask_b32_e64 v59, -1, v2, s[4:5]
	v_add_lshl_u32 v2, v1, v4, 4
	v_mul_lo_u32 v3, s20, v3
	v_or_b32_e32 v4, 48, v87
	v_mul_lo_u32 v4, s20, v4
	v_cndmask_b32_e64 v60, -1, v2, s[4:5]
	;; [unrolled: 8-line block ×4, first 2 shown]
	v_add_lshl_u32 v2, v1, v3, 4
	v_cndmask_b32_e64 v65, -1, v2, s[4:5]
	v_add_lshl_u32 v2, v1, v4, 4
	v_add_u32_e32 v3, 0x58, v87
	v_or_b32_e32 v4, 0x60, v87
	v_mul_lo_u32 v3, s20, v3
	v_mul_lo_u32 v4, s20, v4
	s_mov_b32 s27, 0x20000
	s_mov_b32 s26, -2
	s_mov_b32 s25, s13
	v_cndmask_b32_e64 v66, -1, v2, s[4:5]
	v_add_lshl_u32 v2, v1, v3, 4
	v_add_lshl_u32 v1, v1, v4, 4
	v_cndmask_b32_e64 v67, -1, v2, s[4:5]
	v_cndmask_b32_e64 v68, -1, v1, s[4:5]
	buffer_load_dwordx4 v[1:4], v56, s[24:27], s12 offen
	buffer_load_dwordx4 v[33:36], v57, s[24:27], s12 offen
	;; [unrolled: 1-line block ×13, first 2 shown]
	s_and_saveexec_b64 s[4:5], s[2:3]
	s_cbranch_execz .LBB0_13
; %bb.12:
	s_waitcnt vmcnt(11)
	v_add_f64 v[62:63], v[3:4], v[35:36]
	v_add_f64 v[64:65], v[1:2], v[33:34]
	s_waitcnt vmcnt(4)
	v_add_f64 v[72:73], v[39:40], v[31:32]
	v_add_f64 v[70:71], v[39:40], -v[31:32]
	v_add_f64 v[58:59], v[5:6], -v[9:10]
	v_add_f64 v[56:57], v[5:6], v[9:10]
	s_mov_b32 s2, 0x93053d00
	s_mov_b32 s3, 0xbfef11f4
	v_add_f64 v[68:69], v[62:63], v[43:44]
	v_add_f64 v[74:75], v[64:65], v[41:42]
	v_add_f64 v[64:65], v[37:38], -v[29:30]
	v_add_f64 v[62:63], v[37:38], v[29:30]
	s_waitcnt vmcnt(3)
	v_add_f64 v[78:79], v[47:48], v[27:28]
	v_add_f64 v[76:77], v[47:48], -v[27:28]
	s_mov_b32 s12, 0xe00740e9
	s_mov_b32 s18, 0x4bc48dbf
	v_add_f64 v[82:83], v[68:69], v[51:52]
	v_add_f64 v[84:85], v[74:75], v[49:50]
	s_mov_b32 s13, 0x3fec55a7
	s_mov_b32 s19, 0x3fcea1e5
	;; [unrolled: 1-line block ×4, first 2 shown]
	v_add_f64 v[66:67], v[45:46], -v[25:26]
	v_add_f64 v[68:69], v[45:46], v[25:26]
	v_add_f64 v[88:89], v[82:83], v[47:48]
	;; [unrolled: 1-line block ×3, first 2 shown]
	s_waitcnt vmcnt(0)
	v_add_f64 v[84:85], v[35:36], v[15:16]
	v_add_f64 v[47:48], v[43:44], v[19:20]
	v_add_f64 v[82:83], v[33:34], -v[13:14]
	v_add_f64 v[35:36], v[35:36], -v[15:16]
	v_add_f64 v[80:81], v[51:52], v[23:24]
	v_add_f64 v[45:46], v[41:42], -v[17:18]
	v_add_f64 v[39:40], v[88:89], v[39:40]
	v_add_f64 v[37:38], v[90:91], v[37:38]
	v_add_f64 v[43:44], v[43:44], -v[19:20]
	v_add_f64 v[33:34], v[33:34], v[13:14]
	s_mov_b32 s20, 0x4267c47c
	s_mov_b32 s22, 0xd0032e0c
	;; [unrolled: 1-line block ×4, first 2 shown]
	v_add_f64 v[39:40], v[39:40], v[7:8]
	v_add_f64 v[5:6], v[37:38], v[5:6]
	s_mov_b32 s35, 0x3fddbe06
	s_mov_b32 s34, s20
	v_add_f64 v[74:75], v[49:50], -v[21:22]
	v_add_f64 v[51:52], v[51:52], -v[23:24]
	v_add_f64 v[41:42], v[41:42], v[17:18]
	v_mul_f64 v[88:89], v[80:81], s[22:23]
	v_add_f64 v[37:38], v[39:40], v[11:12]
	v_add_f64 v[5:6], v[5:6], v[9:10]
	v_mul_f64 v[9:10], v[84:85], s[2:3]
	s_mov_b32 s24, 0x24c2f84
	s_mov_b32 s36, 0x1ea71119
	;; [unrolled: 1-line block ×5, first 2 shown]
	v_add_f64 v[31:32], v[37:38], v[31:32]
	v_add_f64 v[5:6], v[5:6], v[29:30]
	v_mul_f64 v[29:30], v[35:36], s[26:27]
	v_mul_f64 v[37:38], v[47:48], s[12:13]
	v_fma_f64 v[39:40], v[82:83], s[18:19], v[9:10]
	s_mov_b32 s38, s24
	v_add_f64 v[49:50], v[49:50], v[21:22]
	v_mul_f64 v[92:93], v[51:52], s[38:39]
	v_add_f64 v[27:28], v[31:32], v[27:28]
	v_add_f64 v[5:6], v[5:6], v[25:26]
	v_mul_f64 v[25:26], v[43:44], s[34:35]
	v_fma_f64 v[31:32], v[33:34], s[2:3], v[29:30]
	v_fma_f64 v[90:91], v[45:46], s[20:21], v[37:38]
	v_add_f64 v[39:40], v[3:4], v[39:40]
	v_fma_f64 v[94:95], v[74:75], s[24:25], v[88:89]
	s_mov_b32 s52, 0x42a4c3d2
	v_add_f64 v[23:24], v[27:28], v[23:24]
	v_add_f64 v[5:6], v[5:6], v[21:22]
	v_mul_f64 v[27:28], v[78:79], s[36:37]
	v_fma_f64 v[21:22], v[41:42], s[12:13], v[25:26]
	v_add_f64 v[31:32], v[1:2], v[31:32]
	v_add_f64 v[39:40], v[90:91], v[39:40]
	s_mov_b32 s40, 0xb2365da1
	s_mov_b32 s53, 0xbfea55e2
	;; [unrolled: 1-line block ×5, first 2 shown]
	v_add_f64 v[60:61], v[7:8], v[11:12]
	v_add_f64 v[19:20], v[23:24], v[19:20]
	;; [unrolled: 1-line block ×4, first 2 shown]
	v_fma_f64 v[21:22], v[49:50], s[22:23], v[92:93]
	v_mul_f64 v[23:24], v[76:77], s[44:45]
	v_fma_f64 v[31:32], v[66:67], s[52:53], v[27:28]
	v_add_f64 v[39:40], v[94:95], v[39:40]
	v_mul_f64 v[90:91], v[72:73], s[40:41]
	v_fma_f64 v[9:10], v[82:83], s[26:27], v[9:10]
	s_mov_b32 s42, 0x2ef20147
	s_mov_b32 s48, 0xebaa3ed8
	;; [unrolled: 1-line block ×6, first 2 shown]
	v_add_f64 v[17:18], v[21:22], v[17:18]
	v_fma_f64 v[94:95], v[68:69], s[36:37], v[23:24]
	v_mul_f64 v[96:97], v[70:71], s[46:47]
	v_add_f64 v[21:22], v[7:8], -v[11:12]
	v_add_f64 v[7:8], v[19:20], v[15:16]
	v_add_f64 v[5:6], v[5:6], v[13:14]
	;; [unrolled: 1-line block ×3, first 2 shown]
	v_fma_f64 v[13:14], v[64:65], s[42:43], v[90:91]
	v_fma_f64 v[19:20], v[45:46], s[34:35], v[37:38]
	v_fma_f64 v[29:30], v[33:34], s[2:3], -v[29:30]
	v_add_f64 v[9:10], v[3:4], v[9:10]
	v_mul_f64 v[31:32], v[60:61], s[48:49]
	s_mov_b32 s54, 0x66966769
	s_mov_b32 s55, 0xbfefc445
	;; [unrolled: 1-line block ×4, first 2 shown]
	v_add_f64 v[15:16], v[94:95], v[17:18]
	v_fma_f64 v[17:18], v[62:63], s[40:41], v[96:97]
	v_fma_f64 v[25:26], v[41:42], s[12:13], -v[25:26]
	v_add_f64 v[29:30], v[1:2], v[29:30]
	v_mul_f64 v[37:38], v[21:22], s[50:51]
	v_add_f64 v[9:10], v[19:20], v[9:10]
	v_fma_f64 v[19:20], v[74:75], s[38:39], v[88:89]
	v_add_f64 v[11:12], v[13:14], v[11:12]
	v_fma_f64 v[13:14], v[58:59], s[54:55], v[31:32]
	v_mul_f64 v[39:40], v[84:85], s[22:23]
	v_add_f64 v[15:16], v[17:18], v[15:16]
	v_add_f64 v[17:18], v[25:26], v[29:30]
	v_fma_f64 v[25:26], v[49:50], s[22:23], -v[92:93]
	v_fma_f64 v[29:30], v[56:57], s[48:49], v[37:38]
	v_add_f64 v[19:20], v[19:20], v[9:10]
	v_fma_f64 v[27:28], v[66:67], s[44:45], v[27:28]
	v_add_f64 v[11:12], v[13:14], v[11:12]
	v_fma_f64 v[13:14], v[82:83], s[24:25], v[39:40]
	v_mul_f64 v[88:89], v[47:48], s[48:49]
	v_mul_f64 v[92:93], v[35:36], s[38:39]
	v_add_f64 v[17:18], v[25:26], v[17:18]
	v_fma_f64 v[23:24], v[68:69], s[36:37], -v[23:24]
	v_add_f64 v[9:10], v[29:30], v[15:16]
	v_add_f64 v[15:16], v[27:28], v[19:20]
	v_fma_f64 v[19:20], v[64:65], s[46:47], v[90:91]
	v_add_f64 v[13:14], v[3:4], v[13:14]
	v_fma_f64 v[25:26], v[45:46], s[54:55], v[88:89]
	v_fma_f64 v[27:28], v[33:34], s[22:23], v[92:93]
	v_mul_f64 v[29:30], v[43:44], s[50:51]
	v_add_f64 v[17:18], v[23:24], v[17:18]
	v_mul_f64 v[23:24], v[80:81], s[36:37]
	v_fma_f64 v[90:91], v[62:63], s[40:41], -v[96:97]
	v_add_f64 v[15:16], v[19:20], v[15:16]
	v_fma_f64 v[19:20], v[58:59], s[50:51], v[31:32]
	v_add_f64 v[13:14], v[25:26], v[13:14]
	v_add_f64 v[25:26], v[1:2], v[27:28]
	v_fma_f64 v[27:28], v[41:42], s[48:49], v[29:30]
	v_mul_f64 v[31:32], v[51:52], s[52:53]
	v_fma_f64 v[94:95], v[74:75], s[44:45], v[23:24]
	v_add_f64 v[17:18], v[90:91], v[17:18]
	v_mul_f64 v[90:91], v[78:79], s[2:3]
	v_add_f64 v[15:16], v[19:20], v[15:16]
	v_fma_f64 v[37:38], v[56:57], s[48:49], -v[37:38]
	v_fma_f64 v[39:40], v[82:83], s[38:39], v[39:40]
	v_add_f64 v[19:20], v[27:28], v[25:26]
	v_fma_f64 v[25:26], v[49:50], s[36:37], v[31:32]
	v_add_f64 v[27:28], v[94:95], v[13:14]
	v_mul_f64 v[94:95], v[76:77], s[18:19]
	v_fma_f64 v[96:97], v[66:67], s[26:27], v[90:91]
	v_fma_f64 v[88:89], v[45:46], s[50:51], v[88:89]
	v_add_f64 v[13:14], v[37:38], v[17:18]
	v_add_f64 v[39:40], v[3:4], v[39:40]
	v_mul_f64 v[17:18], v[72:73], s[12:13]
	v_add_f64 v[19:20], v[25:26], v[19:20]
	v_fma_f64 v[25:26], v[33:34], s[22:23], -v[92:93]
	v_fma_f64 v[37:38], v[68:69], s[2:3], v[94:95]
	v_mul_f64 v[92:93], v[70:71], s[34:35]
	v_fma_f64 v[29:30], v[41:42], s[48:49], -v[29:30]
	v_add_f64 v[27:28], v[96:97], v[27:28]
	v_add_f64 v[39:40], v[88:89], v[39:40]
	v_fma_f64 v[23:24], v[74:75], s[52:53], v[23:24]
	v_fma_f64 v[88:89], v[64:65], s[20:21], v[17:18]
	v_add_f64 v[25:26], v[1:2], v[25:26]
	v_add_f64 v[19:20], v[37:38], v[19:20]
	v_fma_f64 v[37:38], v[62:63], s[12:13], v[92:93]
	v_mul_f64 v[96:97], v[60:61], s[40:41]
	v_mul_f64 v[98:99], v[21:22], s[46:47]
	;; [unrolled: 1-line block ×3, first 2 shown]
	v_add_f64 v[23:24], v[23:24], v[39:40]
	v_fma_f64 v[39:40], v[66:67], s[18:19], v[90:91]
	v_add_f64 v[25:26], v[29:30], v[25:26]
	v_fma_f64 v[29:30], v[49:50], s[36:37], -v[31:32]
	v_add_f64 v[27:28], v[88:89], v[27:28]
	v_add_f64 v[31:32], v[37:38], v[19:20]
	v_fma_f64 v[19:20], v[58:59], s[42:43], v[96:97]
	v_mul_f64 v[37:38], v[84:85], s[40:41]
	v_fma_f64 v[88:89], v[56:57], s[40:41], v[98:99]
	v_add_f64 v[23:24], v[39:40], v[23:24]
	v_fma_f64 v[39:40], v[64:65], s[34:35], v[17:18]
	v_add_f64 v[25:26], v[29:30], v[25:26]
	v_fma_f64 v[29:30], v[68:69], s[2:3], -v[94:95]
	v_mul_f64 v[90:91], v[35:36], s[46:47]
	v_add_f64 v[19:20], v[19:20], v[27:28]
	v_fma_f64 v[27:28], v[82:83], s[42:43], v[37:38]
	v_mul_f64 v[94:95], v[47:48], s[22:23]
	v_add_f64 v[17:18], v[88:89], v[31:32]
	v_add_f64 v[23:24], v[39:40], v[23:24]
	v_mul_f64 v[39:40], v[43:44], s[24:25]
	v_add_f64 v[25:26], v[29:30], v[25:26]
	v_fma_f64 v[29:30], v[62:63], s[12:13], -v[92:93]
	v_fma_f64 v[31:32], v[33:34], s[40:41], v[90:91]
	v_add_f64 v[27:28], v[3:4], v[27:28]
	v_fma_f64 v[88:89], v[45:46], s[38:39], v[94:95]
	v_mul_f64 v[92:93], v[80:81], s[12:13]
	v_fma_f64 v[96:97], v[58:59], s[46:47], v[96:97]
	v_fma_f64 v[98:99], v[56:57], s[40:41], -v[98:99]
	v_fma_f64 v[100:101], v[41:42], s[22:23], v[39:40]
	v_add_f64 v[29:30], v[29:30], v[25:26]
	v_add_f64 v[31:32], v[1:2], v[31:32]
	v_mul_f64 v[104:105], v[78:79], s[48:49]
	v_add_f64 v[27:28], v[88:89], v[27:28]
	v_fma_f64 v[88:89], v[74:75], s[20:21], v[92:93]
	v_add_f64 v[25:26], v[96:97], v[23:24]
	v_fma_f64 v[96:97], v[49:50], s[12:13], v[102:103]
	v_fma_f64 v[94:95], v[45:46], s[24:25], v[94:95]
	v_add_f64 v[23:24], v[98:99], v[29:30]
	v_fma_f64 v[29:30], v[82:83], s[46:47], v[37:38]
	v_add_f64 v[31:32], v[100:101], v[31:32]
	v_mul_f64 v[100:101], v[76:77], s[54:55]
	v_add_f64 v[27:28], v[88:89], v[27:28]
	v_fma_f64 v[37:38], v[66:67], s[50:51], v[104:105]
	v_fma_f64 v[88:89], v[33:34], s[40:41], -v[90:91]
	v_mul_f64 v[90:91], v[72:73], s[2:3]
	v_mul_f64 v[98:99], v[70:71], s[18:19]
	v_add_f64 v[29:30], v[3:4], v[29:30]
	v_add_f64 v[31:32], v[96:97], v[31:32]
	v_fma_f64 v[96:97], v[68:69], s[48:49], v[100:101]
	v_fma_f64 v[39:40], v[41:42], s[22:23], -v[39:40]
	v_add_f64 v[27:28], v[37:38], v[27:28]
	v_add_f64 v[88:89], v[1:2], v[88:89]
	v_fma_f64 v[37:38], v[64:65], s[26:27], v[90:91]
	v_mul_f64 v[106:107], v[60:61], s[36:37]
	v_add_f64 v[29:30], v[94:95], v[29:30]
	v_fma_f64 v[92:93], v[74:75], s[34:35], v[92:93]
	v_add_f64 v[31:32], v[96:97], v[31:32]
	v_fma_f64 v[94:95], v[62:63], s[2:3], v[98:99]
	v_mul_f64 v[96:97], v[84:85], s[48:49]
	v_add_f64 v[39:40], v[39:40], v[88:89]
	v_fma_f64 v[88:89], v[49:50], s[12:13], -v[102:103]
	v_add_f64 v[27:28], v[37:38], v[27:28]
	v_fma_f64 v[37:38], v[58:59], s[52:53], v[106:107]
	v_mul_f64 v[102:103], v[21:22], s[44:45]
	v_add_f64 v[92:93], v[92:93], v[29:30]
	v_fma_f64 v[104:105], v[66:67], s[54:55], v[104:105]
	v_add_f64 v[31:32], v[94:95], v[31:32]
	v_fma_f64 v[90:91], v[64:65], s[18:19], v[90:91]
	v_add_f64 v[39:40], v[88:89], v[39:40]
	v_fma_f64 v[88:89], v[68:69], s[48:49], -v[100:101]
	v_add_f64 v[29:30], v[37:38], v[27:28]
	v_fma_f64 v[27:28], v[82:83], s[50:51], v[96:97]
	v_mul_f64 v[37:38], v[47:48], s[2:3]
	v_fma_f64 v[94:95], v[56:57], s[36:37], v[102:103]
	v_add_f64 v[92:93], v[104:105], v[92:93]
	v_mul_f64 v[100:101], v[35:36], s[54:55]
	v_fma_f64 v[96:97], v[82:83], s[54:55], v[96:97]
	v_add_f64 v[39:40], v[88:89], v[39:40]
	v_fma_f64 v[88:89], v[62:63], s[2:3], -v[98:99]
	v_add_f64 v[98:99], v[3:4], v[27:28]
	v_fma_f64 v[104:105], v[45:46], s[18:19], v[37:38]
	v_add_f64 v[27:28], v[94:95], v[31:32]
	v_mul_f64 v[31:32], v[80:81], s[40:41]
	v_add_f64 v[90:91], v[90:91], v[92:93]
	v_fma_f64 v[92:93], v[33:34], s[48:49], v[100:101]
	v_mul_f64 v[94:95], v[43:44], s[26:27]
	v_fma_f64 v[100:101], v[33:34], s[48:49], -v[100:101]
	v_add_f64 v[88:89], v[88:89], v[39:40]
	v_fma_f64 v[39:40], v[58:59], s[44:45], v[106:107]
	v_add_f64 v[98:99], v[104:105], v[98:99]
	v_fma_f64 v[104:105], v[74:75], s[46:47], v[31:32]
	v_mul_f64 v[108:109], v[51:52], s[42:43]
	v_add_f64 v[92:93], v[1:2], v[92:93]
	v_fma_f64 v[106:107], v[41:42], s[2:3], v[94:95]
	v_fma_f64 v[37:38], v[45:46], s[26:27], v[37:38]
	v_add_f64 v[96:97], v[3:4], v[96:97]
	v_fma_f64 v[94:95], v[41:42], s[2:3], -v[94:95]
	v_add_f64 v[100:101], v[1:2], v[100:101]
	v_mul_f64 v[110:111], v[78:79], s[12:13]
	v_add_f64 v[98:99], v[104:105], v[98:99]
	v_fma_f64 v[104:105], v[49:50], s[40:41], v[108:109]
	v_add_f64 v[92:93], v[106:107], v[92:93]
	v_mul_f64 v[106:107], v[76:77], s[34:35]
	v_add_f64 v[37:38], v[37:38], v[96:97]
	v_fma_f64 v[31:32], v[74:75], s[42:43], v[31:32]
	v_add_f64 v[94:95], v[94:95], v[100:101]
	v_fma_f64 v[96:97], v[49:50], s[40:41], -v[108:109]
	v_fma_f64 v[112:113], v[66:67], s[20:21], v[110:111]
	v_mul_f64 v[100:101], v[72:73], s[36:37]
	v_add_f64 v[92:93], v[104:105], v[92:93]
	v_fma_f64 v[104:105], v[68:69], s[12:13], v[106:107]
	v_mul_f64 v[108:109], v[70:71], s[52:53]
	v_add_f64 v[31:32], v[31:32], v[37:38]
	v_fma_f64 v[37:38], v[66:67], s[34:35], v[110:111]
	v_add_f64 v[94:95], v[96:97], v[94:95]
	v_fma_f64 v[96:97], v[68:69], s[12:13], -v[106:107]
	v_add_f64 v[98:99], v[112:113], v[98:99]
	v_fma_f64 v[106:107], v[64:65], s[44:45], v[100:101]
	v_add_f64 v[92:93], v[104:105], v[92:93]
	v_fma_f64 v[104:105], v[62:63], s[36:37], v[108:109]
	v_mul_f64 v[110:111], v[60:61], s[22:23]
	v_mul_f64 v[112:113], v[21:22], s[38:39]
	v_add_f64 v[31:32], v[37:38], v[31:32]
	v_fma_f64 v[37:38], v[64:65], s[52:53], v[100:101]
	v_add_f64 v[94:95], v[96:97], v[94:95]
	v_fma_f64 v[96:97], v[62:63], s[36:37], -v[108:109]
	v_fma_f64 v[100:101], v[56:57], s[36:37], -v[102:103]
	v_add_f64 v[39:40], v[39:40], v[90:91]
	v_add_f64 v[90:91], v[106:107], v[98:99]
	;; [unrolled: 1-line block ×3, first 2 shown]
	v_fma_f64 v[102:103], v[56:57], s[22:23], v[112:113]
	v_add_f64 v[31:32], v[37:38], v[31:32]
	v_fma_f64 v[104:105], v[56:57], s[22:23], -v[112:113]
	v_add_f64 v[96:97], v[96:97], v[94:95]
	v_fma_f64 v[94:95], v[58:59], s[38:39], v[110:111]
	v_mul_f64 v[106:107], v[84:85], s[36:37]
	v_fma_f64 v[98:99], v[58:59], s[24:25], v[110:111]
	v_add_f64 v[37:38], v[100:101], v[88:89]
	v_mul_f64 v[84:85], v[84:85], s[12:13]
	v_add_f64 v[88:89], v[102:103], v[92:93]
	v_mul_f64 v[108:109], v[80:81], s[2:3]
	v_add_f64 v[92:93], v[104:105], v[96:97]
	v_add_f64 v[94:95], v[94:95], v[31:32]
	v_fma_f64 v[31:32], v[82:83], s[44:45], v[106:107]
	v_mul_f64 v[96:97], v[47:48], s[40:41]
	v_add_f64 v[90:91], v[98:99], v[90:91]
	v_mul_f64 v[98:99], v[35:36], s[52:53]
	v_fma_f64 v[100:101], v[82:83], s[52:53], v[106:107]
	v_fma_f64 v[102:103], v[82:83], s[34:35], v[84:85]
	;; [unrolled: 1-line block ×3, first 2 shown]
	v_mul_f64 v[35:36], v[35:36], s[20:21]
	v_add_f64 v[31:32], v[3:4], v[31:32]
	v_fma_f64 v[84:85], v[45:46], s[42:43], v[96:97]
	v_mul_f64 v[118:119], v[72:73], s[48:49]
	v_fma_f64 v[104:105], v[33:34], s[36:37], v[98:99]
	v_fma_f64 v[98:99], v[33:34], s[36:37], -v[98:99]
	v_mul_f64 v[106:107], v[43:44], s[46:47]
	v_add_f64 v[100:101], v[3:4], v[100:101]
	v_fma_f64 v[114:115], v[33:34], s[12:13], v[35:36]
	v_fma_f64 v[33:34], v[33:34], s[12:13], -v[35:36]
	v_add_f64 v[31:32], v[84:85], v[31:32]
	v_fma_f64 v[35:36], v[74:75], s[18:19], v[108:109]
	v_mul_f64 v[84:85], v[78:79], s[22:23]
	v_fma_f64 v[96:97], v[45:46], s[46:47], v[96:97]
	v_add_f64 v[104:105], v[1:2], v[104:105]
	v_mul_f64 v[112:113], v[51:52], s[26:27]
	v_add_f64 v[98:99], v[1:2], v[98:99]
	v_add_f64 v[114:115], v[1:2], v[114:115]
	;; [unrolled: 1-line block ×4, first 2 shown]
	v_fma_f64 v[35:36], v[66:67], s[38:39], v[84:85]
	v_fma_f64 v[33:34], v[41:42], s[40:41], -v[106:107]
	v_mul_f64 v[47:48], v[47:48], s[36:37]
	v_add_f64 v[96:97], v[96:97], v[100:101]
	v_fma_f64 v[100:101], v[74:75], s[26:27], v[108:109]
	v_add_f64 v[102:103], v[3:4], v[102:103]
	v_add_f64 v[3:4], v[3:4], v[82:83]
	v_mul_f64 v[80:81], v[80:81], s[48:49]
	v_add_f64 v[31:32], v[35:36], v[31:32]
	v_fma_f64 v[35:36], v[64:65], s[54:55], v[118:119]
	v_add_f64 v[33:34], v[33:34], v[98:99]
	v_fma_f64 v[98:99], v[45:46], s[52:53], v[47:48]
	;; [unrolled: 2-line block ×3, first 2 shown]
	v_mul_f64 v[51:52], v[51:52], s[54:55]
	v_mul_f64 v[116:117], v[76:77], s[24:25]
	;; [unrolled: 1-line block ×3, first 2 shown]
	v_add_f64 v[31:32], v[35:36], v[31:32]
	v_mul_f64 v[35:36], v[43:44], s[52:53]
	v_fma_f64 v[43:44], v[49:50], s[2:3], -v[112:113]
	v_add_f64 v[3:4], v[98:99], v[3:4]
	v_add_f64 v[84:85], v[84:85], v[96:97]
	v_fma_f64 v[96:97], v[49:50], s[48:49], -v[51:52]
	v_mul_f64 v[76:77], v[76:77], s[46:47]
	v_fma_f64 v[110:111], v[41:42], s[40:41], v[106:107]
	v_mul_f64 v[82:83], v[70:71], s[50:51]
	v_fma_f64 v[100:101], v[41:42], s[36:37], -v[35:36]
	v_add_f64 v[33:34], v[43:44], v[33:34]
	v_fma_f64 v[43:44], v[74:75], s[54:55], v[80:81]
	v_fma_f64 v[98:99], v[68:69], s[22:23], -v[116:117]
	v_mul_f64 v[72:73], v[72:73], s[22:23]
	v_fma_f64 v[45:46], v[45:46], s[44:45], v[47:48]
	v_fma_f64 v[47:48], v[68:69], s[40:41], -v[76:77]
	v_mul_f64 v[70:71], v[70:71], s[38:39]
	v_add_f64 v[1:2], v[100:101], v[1:2]
	v_fma_f64 v[35:36], v[41:42], s[36:37], v[35:36]
	v_add_f64 v[3:4], v[43:44], v[3:4]
	v_fma_f64 v[43:44], v[66:67], s[46:47], v[78:79]
	;; [unrolled: 2-line block ×3, first 2 shown]
	v_fma_f64 v[106:107], v[62:63], s[48:49], v[82:83]
	v_add_f64 v[33:34], v[98:99], v[33:34]
	v_add_f64 v[1:2], v[96:97], v[1:2]
	v_fma_f64 v[82:83], v[62:63], s[48:49], -v[82:83]
	v_fma_f64 v[41:42], v[64:65], s[38:39], v[72:73]
	v_add_f64 v[3:4], v[43:44], v[3:4]
	v_fma_f64 v[43:44], v[74:75], s[50:51], v[80:81]
	v_add_f64 v[45:46], v[45:46], v[102:103]
	;; [unrolled: 2-line block ×3, first 2 shown]
	v_add_f64 v[1:2], v[47:48], v[1:2]
	v_fma_f64 v[47:48], v[62:63], s[22:23], -v[70:71]
	v_add_f64 v[51:52], v[82:83], v[33:34]
	v_add_f64 v[41:42], v[41:42], v[3:4]
	v_fma_f64 v[3:4], v[66:67], s[42:43], v[78:79]
	v_add_f64 v[33:34], v[43:44], v[45:46]
	v_add_f64 v[104:105], v[110:111], v[104:105]
	;; [unrolled: 1-line block ×3, first 2 shown]
	v_fma_f64 v[110:111], v[68:69], s[22:23], v[116:117]
	v_add_f64 v[45:46], v[47:48], v[1:2]
	v_fma_f64 v[1:2], v[68:69], s[40:41], v[76:77]
	v_fma_f64 v[100:101], v[64:65], s[50:51], v[118:119]
	v_mul_f64 v[43:44], v[60:61], s[12:13]
	v_mul_f64 v[49:50], v[60:61], s[2:3]
	v_mul_f64 v[60:61], v[21:22], s[34:35]
	v_mul_f64 v[21:22], v[21:22], s[26:27]
	v_add_f64 v[3:4], v[3:4], v[33:34]
	v_fma_f64 v[33:34], v[62:63], s[22:23], v[70:71]
	v_add_f64 v[1:2], v[1:2], v[35:36]
	v_add_f64 v[104:105], v[110:111], v[104:105]
	v_fma_f64 v[47:48], v[64:65], s[24:25], v[72:73]
	v_add_f64 v[74:75], v[100:101], v[84:85]
	v_fma_f64 v[62:63], v[58:59], s[20:21], v[43:44]
	v_fma_f64 v[43:44], v[58:59], s[34:35], v[43:44]
	;; [unrolled: 1-line block ×4, first 2 shown]
	v_fma_f64 v[58:59], v[56:57], s[2:3], -v[21:22]
	v_fma_f64 v[64:65], v[56:57], s[12:13], v[60:61]
	v_fma_f64 v[60:61], v[56:57], s[12:13], -v[60:61]
	v_fma_f64 v[21:22], v[56:57], s[2:3], v[21:22]
	v_add_f64 v[56:57], v[33:34], v[1:2]
	v_add_f64 v[104:105], v[106:107], v[104:105]
	;; [unrolled: 1-line block ×9, first 2 shown]
	v_mul_u32_u24_e32 v21, 0xd00, v87
	v_lshlrev_b32_e32 v22, 4, v86
	v_add3_u32 v21, 0, v21, v22
	v_add_f64 v[1:2], v[64:65], v[104:105]
	v_add_f64 v[47:48], v[49:50], v[47:48]
	ds_write_b128 v21, v[5:8]
	ds_write_b128 v21, v[41:44] offset:256
	ds_write_b128 v21, v[31:34] offset:512
	;; [unrolled: 1-line block ×12, first 2 shown]
.LBB0_13:
	s_or_b64 exec, exec, s[4:5]
	s_or_b64 s[0:1], vcc, s[0:1]
	s_waitcnt vmcnt(0) lgkmcnt(0)
	s_barrier
	s_and_saveexec_b64 s[2:3], s[0:1]
	s_cbranch_execz .LBB0_15
; %bb.14:
	v_mul_lo_u16_e32 v1, 20, v87
	v_mov_b32_e32 v2, 13
	v_mul_lo_u16_sdwa v1, v1, v2 dst_sel:DWORD dst_unused:UNUSED_PAD src0_sel:BYTE_1 src1_sel:DWORD
	v_sub_u16_e32 v1, v87, v1
	v_and_b32_e32 v5, 0xff, v1
	v_mul_u32_u24_e32 v1, 7, v5
	v_lshlrev_b32_e32 v30, 4, v1
	global_load_dwordx4 v[1:4], v30, s[30:31]
	global_load_dwordx4 v[6:9], v30, s[30:31] offset:64
	global_load_dwordx4 v[10:13], v30, s[30:31] offset:32
	;; [unrolled: 1-line block ×6, first 2 shown]
	v_lshlrev_b32_e32 v30, 8, v87
	v_lshlrev_b32_e32 v31, 4, v86
	v_add3_u32 v50, 0, v30, v31
	s_load_dwordx2 s[0:1], s[6:7], 0x0
	ds_read_b128 v[30:33], v50 offset:3328
	ds_read_b128 v[34:37], v50
	ds_read_b128 v[38:41], v50 offset:16640
	ds_read_b128 v[42:45], v50 offset:13312
	;; [unrolled: 1-line block ×6, first 2 shown]
	v_add_u32_e32 v50, 0x5b, v5
	v_mul_lo_u32 v50, v55, v50
	v_mov_b32_e32 v52, 4
	v_mov_b32_e32 v115, 0x1000
	v_add_u32_e32 v51, 0x4e, v5
	v_lshlrev_b32_sdwa v80, v52, v50 dst_sel:DWORD dst_unused:UNUSED_PAD src0_sel:DWORD src1_sel:BYTE_0
	v_bfe_u32 v50, v50, 8, 8
	v_add_u32_e32 v76, 0x41, v5
	v_add_u32_e32 v77, 52, v5
	v_lshl_or_b32 v50, v50, 4, v115
	global_load_dwordx4 v[68:71], v80, s[16:17]
	global_load_dwordx4 v[72:75], v50, s[16:17]
	v_add_u32_e32 v78, 39, v5
	v_mul_lo_u32 v50, v55, v51
	v_mul_lo_u32 v51, v55, v76
	;; [unrolled: 1-line block ×4, first 2 shown]
	v_add_u32_e32 v79, 26, v5
	v_lshlrev_b32_sdwa v84, v52, v50 dst_sel:DWORD dst_unused:UNUSED_PAD src0_sel:DWORD src1_sel:BYTE_0
	v_bfe_u32 v50, v50, 8, 8
	v_lshlrev_b32_sdwa v103, v52, v76 dst_sel:DWORD dst_unused:UNUSED_PAD src0_sel:DWORD src1_sel:BYTE_0
	v_bfe_u32 v76, v76, 8, 8
	v_mul_lo_u32 v118, v55, v79
	v_lshlrev_b32_sdwa v85, v52, v51 dst_sel:DWORD dst_unused:UNUSED_PAD src0_sel:DWORD src1_sel:BYTE_0
	v_bfe_u32 v51, v51, 8, 8
	v_lshlrev_b32_sdwa v111, v52, v77 dst_sel:DWORD dst_unused:UNUSED_PAD src0_sel:DWORD src1_sel:BYTE_0
	v_bfe_u32 v87, v77, 8, 8
	v_lshl_or_b32 v50, v50, 4, v115
	v_lshl_or_b32 v104, v76, 4, v115
	global_load_dwordx4 v[76:79], v84, s[16:17]
	global_load_dwordx4 v[80:83], v50, s[16:17]
	v_lshl_or_b32 v51, v51, 4, v115
	v_lshl_or_b32 v84, v87, 4, v115
	global_load_dwordx4 v[87:90], v85, s[16:17]
	global_load_dwordx4 v[91:94], v51, s[16:17]
	;; [unrolled: 1-line block ×4, first 2 shown]
	s_nop 0
	global_load_dwordx4 v[103:106], v111, s[16:17]
	global_load_dwordx4 v[107:110], v84, s[16:17]
	v_add_u32_e32 v116, 13, v5
	s_mov_b32 s2, 0x667f3bcd
	s_mov_b32 s3, 0x3fe6a09e
	v_mul_lo_u32 v117, v55, v5
	s_mov_b32 s5, 0xbfe6a09e
	s_mov_b32 s4, s2
	v_mul_u32_u24_e32 v0, 0x13c, v0
	s_waitcnt lgkmcnt(0)
	s_mul_i32 s1, s1, s28
	s_mul_hi_u32 s6, s0, s28
	s_add_i32 s1, s6, s1
	s_mul_i32 s0, s0, s28
	s_lshl_b64 s[0:1], s[0:1], 4
	s_add_u32 s0, s14, s0
	s_addc_u32 s1, s15, s1
	s_waitcnt vmcnt(16)
	v_mul_f64 v[50:51], v[32:33], v[3:4]
	v_mul_f64 v[3:4], v[30:31], v[3:4]
	s_waitcnt vmcnt(15)
	v_mul_f64 v[84:85], v[40:41], v[8:9]
	v_mul_f64 v[8:9], v[38:39], v[8:9]
	;; [unrolled: 3-line block ×3, first 2 shown]
	s_waitcnt vmcnt(13)
	v_mul_f64 v[113:114], v[60:61], v[16:17]
	v_fma_f64 v[30:31], v[30:31], v[1:2], -v[50:51]
	v_fma_f64 v[32:33], v[32:33], v[1:2], v[3:4]
	s_waitcnt vmcnt(12)
	v_mul_f64 v[1:2], v[42:43], v[20:21]
	s_waitcnt vmcnt(11)
	v_mul_f64 v[3:4], v[58:59], v[24:25]
	;; [unrolled: 2-line block ×3, first 2 shown]
	v_fma_f64 v[38:39], v[38:39], v[6:7], -v[84:85]
	v_fma_f64 v[6:7], v[40:41], v[6:7], v[8:9]
	v_mul_f64 v[8:9], v[62:63], v[16:17]
	v_mul_f64 v[16:17], v[44:45], v[20:21]
	;; [unrolled: 1-line block ×4, first 2 shown]
	v_fma_f64 v[1:2], v[44:45], v[18:19], v[1:2]
	v_fma_f64 v[40:41], v[56:57], v[22:23], -v[3:4]
	v_fma_f64 v[3:4], v[64:65], v[26:27], -v[50:51]
	;; [unrolled: 1-line block ×4, first 2 shown]
	v_fma_f64 v[28:29], v[48:49], v[10:11], v[111:112]
	v_fma_f64 v[10:11], v[62:63], v[14:15], v[113:114]
	v_fma_f64 v[12:13], v[42:43], v[18:19], -v[16:17]
	v_fma_f64 v[14:15], v[66:67], v[26:27], v[24:25]
	v_add_f64 v[26:27], v[36:37], -v[1:2]
	v_add_f64 v[18:19], v[40:41], -v[3:4]
	;; [unrolled: 1-line block ×4, first 2 shown]
	v_fma_f64 v[42:43], v[58:59], v[22:23], v[20:21]
	v_add_f64 v[38:39], v[30:31], -v[38:39]
	v_add_f64 v[20:21], v[28:29], -v[10:11]
	v_mul_lo_u32 v1, v55, v116
	v_lshlrev_b32_sdwa v24, v52, v118 dst_sel:DWORD dst_unused:UNUSED_PAD src0_sel:DWORD src1_sel:BYTE_0
	v_add_f64 v[57:58], v[26:27], v[18:19]
	v_bfe_u32 v2, v118, 8, 8
	v_add_f64 v[59:60], v[46:47], v[48:49]
	v_lshlrev_b32_sdwa v25, v52, v1 dst_sel:DWORD dst_unused:UNUSED_PAD src0_sel:DWORD src1_sel:BYTE_0
	v_bfe_u32 v1, v1, 8, 8
	v_add_f64 v[50:51], v[34:35], -v[12:13]
	v_add_f64 v[55:56], v[42:43], -v[14:15]
	v_lshl_or_b32 v65, v2, 4, v115
	v_lshl_or_b32 v66, v1, 4, v115
	v_add_f64 v[61:62], v[38:39], -v[20:21]
	v_fma_f64 v[22:23], v[59:60], s[2:3], v[57:58]
	global_load_dwordx4 v[1:4], v24, s[16:17]
	global_load_dwordx4 v[6:9], v65, s[16:17]
	;; [unrolled: 1-line block ×4, first 2 shown]
	v_fma_f64 v[40:41], v[40:41], 2.0, -v[18:19]
	v_fma_f64 v[113:114], v[32:33], 2.0, -v[46:47]
	v_lshlrev_b32_sdwa v32, v52, v117 dst_sel:DWORD dst_unused:UNUSED_PAD src0_sel:DWORD src1_sel:BYTE_0
	v_bfe_u32 v18, v117, 8, 8
	v_fma_f64 v[28:29], v[28:29], 2.0, -v[20:21]
	v_lshl_or_b32 v33, v18, 4, v115
	v_fma_f64 v[111:112], v[61:62], s[2:3], v[22:23]
	global_load_dwordx4 v[18:21], v32, s[16:17]
	global_load_dwordx4 v[22:25], v33, s[16:17]
	v_add_f64 v[63:64], v[50:51], -v[55:56]
	v_fma_f64 v[34:35], v[34:35], 2.0, -v[50:51]
	s_waitcnt vmcnt(14)
	v_mul_f64 v[32:33], v[68:69], v[74:75]
	v_fma_f64 v[36:37], v[36:37], 2.0, -v[26:27]
	v_fma_f64 v[42:43], v[42:43], 2.0, -v[55:56]
	;; [unrolled: 1-line block ×4, first 2 shown]
	v_mul_f64 v[65:66], v[70:71], v[74:75]
	v_fma_f64 v[84:85], v[61:62], s[2:3], v[63:64]
	v_add_f64 v[48:49], v[34:35], -v[40:41]
	v_add_f64 v[40:41], v[113:114], -v[28:29]
	s_waitcnt vmcnt(12)
	v_mul_f64 v[28:29], v[76:77], v[82:83]
	v_fma_f64 v[32:33], v[70:71], v[72:73], v[32:33]
	v_mul_f64 v[70:71], v[78:79], v[82:83]
	v_fma_f64 v[82:83], v[26:27], 2.0, -v[57:58]
	v_fma_f64 v[46:47], v[46:47], 2.0, -v[59:60]
	v_fma_f64 v[55:56], v[59:60], s[4:5], v[84:85]
	v_add_f64 v[42:43], v[36:37], -v[42:43]
	v_add_f64 v[44:45], v[30:31], -v[44:45]
	;; [unrolled: 1-line block ×3, first 2 shown]
	v_fma_f64 v[78:79], v[78:79], v[80:81], v[28:29]
	v_fma_f64 v[38:39], v[38:39], 2.0, -v[61:62]
	v_fma_f64 v[50:51], v[50:51], 2.0, -v[63:64]
	v_fma_f64 v[61:62], v[46:47], s[4:5], v[82:83]
	v_fma_f64 v[26:27], v[68:69], v[72:73], -v[65:66]
	v_mul_f64 v[28:29], v[55:56], v[32:33]
	v_mul_f64 v[32:33], v[111:112], v[32:33]
	v_add_f64 v[59:60], v[42:43], v[44:45]
	v_fma_f64 v[65:66], v[76:77], v[80:81], -v[70:71]
	v_mul_f64 v[67:68], v[74:75], v[78:79]
	s_waitcnt vmcnt(10)
	v_mul_f64 v[69:70], v[89:90], v[93:94]
	v_fma_f64 v[61:62], v[38:39], s[2:3], v[61:62]
	v_fma_f64 v[38:39], v[38:39], s[4:5], v[50:51]
	;; [unrolled: 1-line block ×3, first 2 shown]
	v_fma_f64 v[26:27], v[55:56], v[26:27], -v[32:33]
	v_mul_f64 v[71:72], v[87:88], v[93:94]
	v_fma_f64 v[76:77], v[36:37], 2.0, -v[42:43]
	v_fma_f64 v[32:33], v[59:60], v[65:66], v[67:68]
	v_mul_f64 v[67:68], v[59:60], v[78:79]
	v_fma_f64 v[78:79], v[34:35], 2.0, -v[48:49]
	v_fma_f64 v[30:31], v[30:31], 2.0, -v[44:45]
	s_waitcnt vmcnt(8)
	v_mul_f64 v[34:35], v[95:96], v[101:102]
	v_fma_f64 v[36:37], v[113:114], 2.0, -v[40:41]
	v_fma_f64 v[46:47], v[46:47], s[4:5], v[38:39]
	s_waitcnt vmcnt(6)
	v_mul_f64 v[38:39], v[103:104], v[109:110]
	v_fma_f64 v[40:41], v[87:88], v[91:92], -v[69:70]
	v_fma_f64 v[44:45], v[89:90], v[91:92], v[71:72]
	v_mul_f64 v[69:70], v[97:98], v[101:102]
	v_add_f64 v[71:72], v[78:79], -v[30:31]
	v_fma_f64 v[30:31], v[97:98], v[99:100], v[34:35]
	v_add_f64 v[80:81], v[76:77], -v[36:37]
	v_mul_f64 v[34:35], v[105:106], v[109:110]
	v_fma_f64 v[55:56], v[63:64], 2.0, -v[55:56]
	v_fma_f64 v[63:64], v[105:106], v[107:108], v[38:39]
	v_mul_f64 v[36:37], v[46:47], v[44:45]
	v_mul_f64 v[38:39], v[61:62], v[44:45]
	v_fma_f64 v[44:45], v[95:96], v[99:100], -v[69:70]
	v_mul_f64 v[69:70], v[71:72], v[30:31]
	v_mul_f64 v[84:85], v[80:81], v[30:31]
	v_fma_f64 v[30:31], v[74:75], v[65:66], -v[67:68]
	v_fma_f64 v[57:58], v[57:58], 2.0, -v[111:112]
	v_fma_f64 v[87:88], v[103:104], v[107:108], -v[34:35]
	v_mul_f64 v[89:90], v[55:56], v[63:64]
	v_fma_f64 v[59:60], v[42:43], 2.0, -v[59:60]
	v_fma_f64 v[48:49], v[48:49], 2.0, -v[74:75]
	v_fma_f64 v[36:37], v[61:62], v[40:41], v[36:37]
	v_fma_f64 v[34:35], v[46:47], v[40:41], -v[38:39]
	v_fma_f64 v[40:41], v[80:81], v[44:45], v[69:70]
	v_fma_f64 v[38:39], v[71:72], v[44:45], -v[84:85]
	s_waitcnt vmcnt(4)
	v_mul_f64 v[65:66], v[1:2], v[8:9]
	v_mul_f64 v[8:9], v[3:4], v[8:9]
	s_waitcnt vmcnt(2)
	v_mul_f64 v[67:68], v[10:11], v[16:17]
	v_fma_f64 v[44:45], v[57:58], v[87:88], v[89:90]
	v_mul_f64 v[16:17], v[12:13], v[16:17]
	v_fma_f64 v[46:47], v[50:51], 2.0, -v[46:47]
	v_fma_f64 v[50:51], v[82:83], 2.0, -v[61:62]
	v_mul_f64 v[42:43], v[57:58], v[63:64]
	v_fma_f64 v[3:4], v[3:4], v[6:7], v[65:66]
	v_fma_f64 v[1:2], v[1:2], v[6:7], -v[8:9]
	v_fma_f64 v[12:13], v[12:13], v[14:15], v[67:68]
	s_waitcnt vmcnt(0)
	v_mul_f64 v[57:58], v[18:19], v[24:25]
	v_fma_f64 v[10:11], v[10:11], v[14:15], -v[16:17]
	v_mul_f64 v[16:17], v[20:21], v[24:25]
	v_fma_f64 v[24:25], v[78:79], 2.0, -v[71:72]
	v_fma_f64 v[42:43], v[55:56], v[87:88], -v[42:43]
	v_mul_f64 v[6:7], v[48:49], v[3:4]
	v_mul_f64 v[8:9], v[59:60], v[3:4]
	;; [unrolled: 1-line block ×4, first 2 shown]
	v_fma_f64 v[20:21], v[20:21], v[22:23], v[57:58]
	v_fma_f64 v[57:58], v[76:77], 2.0, -v[80:81]
	v_fma_f64 v[3:4], v[59:60], v[1:2], v[6:7]
	v_fma_f64 v[1:2], v[48:49], v[1:2], -v[8:9]
	v_fma_f64 v[8:9], v[50:51], v[10:11], v[14:15]
	v_fma_f64 v[6:7], v[46:47], v[10:11], -v[12:13]
	v_fma_f64 v[10:11], v[18:19], v[22:23], -v[16:17]
	v_mul_f64 v[12:13], v[20:21], v[24:25]
	v_mul_f64 v[14:15], v[20:21], v[57:58]
	v_mad_u64_u32 v[16:17], s[2:3], s10, v86, 0
	s_movk_i32 s2, 0x68
	v_mul_lo_u16_sdwa v0, v0, s2 dst_sel:DWORD dst_unused:UNUSED_PAD src0_sel:WORD_1 src1_sel:DWORD
	v_add_u32_e32 v23, v0, v5
	v_mad_u64_u32 v[18:19], s[2:3], s8, v23, 0
	v_mov_b32_e32 v0, v17
	v_mad_u64_u32 v[20:21], s[2:3], s11, v86, v[0:1]
	v_mov_b32_e32 v0, v19
	v_fma_f64 v[12:13], v[10:11], v[57:58], v[12:13]
	v_fma_f64 v[10:11], v[10:11], v[24:25], -v[14:15]
	v_lshlrev_b64 v[14:15], 4, v[53:54]
	v_mad_u64_u32 v[21:22], s[2:3], s9, v23, v[0:1]
	v_mov_b32_e32 v17, v20
	v_mov_b32_e32 v0, s1
	v_add_co_u32_e32 v5, vcc, s0, v14
	v_addc_co_u32_e32 v0, vcc, v0, v15, vcc
	v_lshlrev_b64 v[14:15], 4, v[16:17]
	v_mov_b32_e32 v19, v21
	v_add_u32_e32 v20, 13, v23
	v_add_co_u32_e32 v21, vcc, v5, v14
	v_mad_u64_u32 v[16:17], s[0:1], s8, v20, 0
	v_addc_co_u32_e32 v22, vcc, v0, v15, vcc
	v_lshlrev_b64 v[14:15], 4, v[18:19]
	v_add_u32_e32 v5, 26, v23
	v_add_co_u32_e32 v14, vcc, v21, v14
	v_addc_co_u32_e32 v15, vcc, v22, v15, vcc
	v_mov_b32_e32 v0, v17
	global_store_dwordx4 v[14:15], v[10:13], off
	v_mad_u64_u32 v[17:18], s[0:1], s9, v20, v[0:1]
	v_mad_u64_u32 v[12:13], s[0:1], s8, v5, 0
	v_lshlrev_b64 v[10:11], 4, v[16:17]
	v_add_u32_e32 v16, 39, v23
	v_mov_b32_e32 v0, v13
	v_mad_u64_u32 v[13:14], s[0:1], s9, v5, v[0:1]
	v_add_co_u32_e32 v10, vcc, v21, v10
	v_addc_co_u32_e32 v11, vcc, v22, v11, vcc
	v_mad_u64_u32 v[14:15], s[0:1], s8, v16, 0
	global_store_dwordx4 v[10:11], v[6:9], off
	v_mov_b32_e32 v0, v15
	v_lshlrev_b64 v[5:6], 4, v[12:13]
	v_mad_u64_u32 v[7:8], s[0:1], s9, v16, v[0:1]
	v_add_co_u32_e32 v5, vcc, v21, v5
	v_addc_co_u32_e32 v6, vcc, v22, v6, vcc
	global_store_dwordx4 v[5:6], v[1:4], off
	v_mov_b32_e32 v15, v7
	v_add_u32_e32 v4, 52, v23
	v_mad_u64_u32 v[2:3], s[0:1], s8, v4, 0
	v_add_u32_e32 v6, 0x41, v23
	v_lshlrev_b64 v[0:1], 4, v[14:15]
	v_mad_u64_u32 v[3:4], s[0:1], s9, v4, v[3:4]
	v_mad_u64_u32 v[4:5], s[0:1], s8, v6, 0
	v_add_co_u32_e32 v0, vcc, v21, v0
	v_addc_co_u32_e32 v1, vcc, v22, v1, vcc
	global_store_dwordx4 v[0:1], v[42:45], off
	v_lshlrev_b64 v[0:1], 4, v[2:3]
	v_mov_b32_e32 v2, v5
	v_mad_u64_u32 v[2:3], s[0:1], s9, v6, v[2:3]
	v_add_co_u32_e32 v0, vcc, v21, v0
	v_addc_co_u32_e32 v1, vcc, v22, v1, vcc
	v_mov_b32_e32 v5, v2
	global_store_dwordx4 v[0:1], v[38:41], off
	v_lshlrev_b64 v[0:1], 4, v[4:5]
	v_add_u32_e32 v4, 0x4e, v23
	v_mad_u64_u32 v[2:3], s[0:1], s8, v4, 0
	v_add_u32_e32 v6, 0x5b, v23
	v_add_co_u32_e32 v0, vcc, v21, v0
	v_mad_u64_u32 v[3:4], s[0:1], s9, v4, v[3:4]
	v_mad_u64_u32 v[4:5], s[0:1], s8, v6, 0
	v_addc_co_u32_e32 v1, vcc, v22, v1, vcc
	global_store_dwordx4 v[0:1], v[34:37], off
	v_lshlrev_b64 v[0:1], 4, v[2:3]
	v_mov_b32_e32 v2, v5
	v_mad_u64_u32 v[2:3], s[0:1], s9, v6, v[2:3]
	v_add_co_u32_e32 v0, vcc, v21, v0
	v_addc_co_u32_e32 v1, vcc, v22, v1, vcc
	v_mov_b32_e32 v5, v2
	global_store_dwordx4 v[0:1], v[30:33], off
	v_lshlrev_b64 v[0:1], 4, v[4:5]
	v_add_co_u32_e32 v0, vcc, v21, v0
	v_addc_co_u32_e32 v1, vcc, v22, v1, vcc
	global_store_dwordx4 v[0:1], v[26:29], off
.LBB0_15:
	s_endpgm
	.section	.rodata,"a",@progbits
	.p2align	6, 0x0
	.amdhsa_kernel fft_rtc_fwd_len104_factors_13_8_wgs_208_tpt_13_dp_op_CI_CI_sbcc_twdbase8_2step_dirReg_intrinsicRead
		.amdhsa_group_segment_fixed_size 0
		.amdhsa_private_segment_fixed_size 0
		.amdhsa_kernarg_size 112
		.amdhsa_user_sgpr_count 6
		.amdhsa_user_sgpr_private_segment_buffer 1
		.amdhsa_user_sgpr_dispatch_ptr 0
		.amdhsa_user_sgpr_queue_ptr 0
		.amdhsa_user_sgpr_kernarg_segment_ptr 1
		.amdhsa_user_sgpr_dispatch_id 0
		.amdhsa_user_sgpr_flat_scratch_init 0
		.amdhsa_user_sgpr_private_segment_size 0
		.amdhsa_uses_dynamic_stack 0
		.amdhsa_system_sgpr_private_segment_wavefront_offset 0
		.amdhsa_system_sgpr_workgroup_id_x 1
		.amdhsa_system_sgpr_workgroup_id_y 0
		.amdhsa_system_sgpr_workgroup_id_z 0
		.amdhsa_system_sgpr_workgroup_info 0
		.amdhsa_system_vgpr_workitem_id 0
		.amdhsa_next_free_vgpr 120
		.amdhsa_next_free_sgpr 56
		.amdhsa_reserve_vcc 1
		.amdhsa_reserve_flat_scratch 0
		.amdhsa_float_round_mode_32 0
		.amdhsa_float_round_mode_16_64 0
		.amdhsa_float_denorm_mode_32 3
		.amdhsa_float_denorm_mode_16_64 3
		.amdhsa_dx10_clamp 1
		.amdhsa_ieee_mode 1
		.amdhsa_fp16_overflow 0
		.amdhsa_exception_fp_ieee_invalid_op 0
		.amdhsa_exception_fp_denorm_src 0
		.amdhsa_exception_fp_ieee_div_zero 0
		.amdhsa_exception_fp_ieee_overflow 0
		.amdhsa_exception_fp_ieee_underflow 0
		.amdhsa_exception_fp_ieee_inexact 0
		.amdhsa_exception_int_div_zero 0
	.end_amdhsa_kernel
	.text
.Lfunc_end0:
	.size	fft_rtc_fwd_len104_factors_13_8_wgs_208_tpt_13_dp_op_CI_CI_sbcc_twdbase8_2step_dirReg_intrinsicRead, .Lfunc_end0-fft_rtc_fwd_len104_factors_13_8_wgs_208_tpt_13_dp_op_CI_CI_sbcc_twdbase8_2step_dirReg_intrinsicRead
                                        ; -- End function
	.section	.AMDGPU.csdata,"",@progbits
; Kernel info:
; codeLenInByte = 8032
; NumSgprs: 60
; NumVgprs: 120
; ScratchSize: 0
; MemoryBound: 0
; FloatMode: 240
; IeeeMode: 1
; LDSByteSize: 0 bytes/workgroup (compile time only)
; SGPRBlocks: 7
; VGPRBlocks: 29
; NumSGPRsForWavesPerEU: 60
; NumVGPRsForWavesPerEU: 120
; Occupancy: 2
; WaveLimiterHint : 1
; COMPUTE_PGM_RSRC2:SCRATCH_EN: 0
; COMPUTE_PGM_RSRC2:USER_SGPR: 6
; COMPUTE_PGM_RSRC2:TRAP_HANDLER: 0
; COMPUTE_PGM_RSRC2:TGID_X_EN: 1
; COMPUTE_PGM_RSRC2:TGID_Y_EN: 0
; COMPUTE_PGM_RSRC2:TGID_Z_EN: 0
; COMPUTE_PGM_RSRC2:TIDIG_COMP_CNT: 0
	.type	__hip_cuid_9009a745c6e7ce00,@object ; @__hip_cuid_9009a745c6e7ce00
	.section	.bss,"aw",@nobits
	.globl	__hip_cuid_9009a745c6e7ce00
__hip_cuid_9009a745c6e7ce00:
	.byte	0                               ; 0x0
	.size	__hip_cuid_9009a745c6e7ce00, 1

	.ident	"AMD clang version 19.0.0git (https://github.com/RadeonOpenCompute/llvm-project roc-6.4.0 25133 c7fe45cf4b819c5991fe208aaa96edf142730f1d)"
	.section	".note.GNU-stack","",@progbits
	.addrsig
	.addrsig_sym __hip_cuid_9009a745c6e7ce00
	.amdgpu_metadata
---
amdhsa.kernels:
  - .args:
      - .actual_access:  read_only
        .address_space:  global
        .offset:         0
        .size:           8
        .value_kind:     global_buffer
      - .address_space:  global
        .offset:         8
        .size:           8
        .value_kind:     global_buffer
      - .offset:         16
        .size:           8
        .value_kind:     by_value
      - .actual_access:  read_only
        .address_space:  global
        .offset:         24
        .size:           8
        .value_kind:     global_buffer
      - .actual_access:  read_only
        .address_space:  global
        .offset:         32
        .size:           8
        .value_kind:     global_buffer
      - .actual_access:  read_only
        .address_space:  global
        .offset:         40
        .size:           8
        .value_kind:     global_buffer
      - .offset:         48
        .size:           8
        .value_kind:     by_value
      - .actual_access:  read_only
        .address_space:  global
        .offset:         56
        .size:           8
        .value_kind:     global_buffer
      - .actual_access:  read_only
        .address_space:  global
        .offset:         64
        .size:           8
        .value_kind:     global_buffer
      - .offset:         72
        .size:           4
        .value_kind:     by_value
      - .actual_access:  read_only
        .address_space:  global
        .offset:         80
        .size:           8
        .value_kind:     global_buffer
      - .actual_access:  read_only
        .address_space:  global
        .offset:         88
        .size:           8
        .value_kind:     global_buffer
      - .address_space:  global
        .offset:         96
        .size:           8
        .value_kind:     global_buffer
      - .actual_access:  write_only
        .address_space:  global
        .offset:         104
        .size:           8
        .value_kind:     global_buffer
    .group_segment_fixed_size: 0
    .kernarg_segment_align: 8
    .kernarg_segment_size: 112
    .language:       OpenCL C
    .language_version:
      - 2
      - 0
    .max_flat_workgroup_size: 208
    .name:           fft_rtc_fwd_len104_factors_13_8_wgs_208_tpt_13_dp_op_CI_CI_sbcc_twdbase8_2step_dirReg_intrinsicRead
    .private_segment_fixed_size: 0
    .sgpr_count:     60
    .sgpr_spill_count: 0
    .symbol:         fft_rtc_fwd_len104_factors_13_8_wgs_208_tpt_13_dp_op_CI_CI_sbcc_twdbase8_2step_dirReg_intrinsicRead.kd
    .uniform_work_group_size: 1
    .uses_dynamic_stack: false
    .vgpr_count:     120
    .vgpr_spill_count: 0
    .wavefront_size: 64
amdhsa.target:   amdgcn-amd-amdhsa--gfx906
amdhsa.version:
  - 1
  - 2
...

	.end_amdgpu_metadata
